;; amdgpu-corpus repo=ROCm/aiter kind=harvested arch=n/a opt=n/a

/root/src/amdgpu-assembly/repos/ROCm__aiter/hsa/gfx942/i8gemm/I8gemm_bf16_perTokenI8_BpreShuffle_32x128.co:	file format elf64-amdgpu

Disassembly of section .text:

0000000000002000 <_ZN5aiter41I8gemm_bf16_perTokenI8_BpreShuffle_32x128E>:
	s_and_b32 s1, s1, 0xffff                                   // 000000002000: 8601FF01 0000FFFF
	s_load_dwordx2 s[16:17], s[0:1], 0x0                       // 000000002008: C0060400 00000000
	s_load_dwordx2 s[4:5], s[0:1], 0x10                        // 000000002010: C0060100 00000010
	s_load_dwordx2 s[8:9], s[0:1], 0x20                        // 000000002018: C0060200 00000020
	s_load_dwordx2 s[20:21], s[0:1], 0x30                      // 000000002020: C0060500 00000030
	s_load_dwordx2 s[24:25], s[0:1], 0x40                      // 000000002028: C0060600 00000040
	s_load_dwordx2 s[28:29], s[0:1], 0x50                      // 000000002030: C0060700 00000050
	s_load_dword s32, s[0:1], 0x60                             // 000000002038: C0020800 00000060
	s_load_dword s33, s[0:1], 0x70                             // 000000002040: C0020840 00000070
	s_load_dword s34, s[0:1], 0x80                             // 000000002048: C0020880 00000080
	s_load_dword s35, s[0:1], 0x90                             // 000000002050: C00208C0 00000090
	s_load_dword s36, s[0:1], 0xa0                             // 000000002058: C0020900 000000A0
	s_load_dword s37, s[0:1], 0xb0                             // 000000002060: C0020940 000000B0
	s_load_dword s38, s[0:1], 0xc0                             // 000000002068: C0020980 000000C0
	v_lshrrev_b32_e32 v1, 10, v0                               // 000000002070: 2002008A
	v_lshrrev_b32_e32 v2, 10, v1                               // 000000002074: 2004028A
	v_and_b32_e32 v2, 0x3ff, v2                                // 000000002078: 260404FF 000003FF
	v_and_b32_e32 v1, 0x3ff, v1                                // 000000002080: 260202FF 000003FF
	v_and_b32_e32 v0, 0x3ff, v0                                // 000000002088: 260000FF 000003FF
	v_lshrrev_b32_e32 v3, 6, v0                                // 000000002090: 20060086
	v_and_b32_e32 v0, 63, v0                                   // 000000002094: 260000BF
	s_mov_b32 s41, s2                                          // 000000002098: BEA90002
	s_mov_b32 s42, s3                                          // 00000000209C: BEAA0003
	s_waitcnt lgkmcnt(0)                                       // 0000000020A0: BF8CC07F
	v_readfirstlane_b32 s44, v3                                // 0000000020A4: 7E580503
	s_mov_b32 s6, 0x80000000                                   // 0000000020A8: BE8600FF 80000000
	s_mov_b32 s10, 0x80000000                                  // 0000000020B0: BE8A00FF 80000000
	s_mov_b32 s22, 0x80000000                                  // 0000000020B8: BE9600FF 80000000
	s_mov_b32 s26, 0x80000000                                  // 0000000020C0: BE9A00FF 80000000
	s_mov_b32 s30, 0x80000000                                  // 0000000020C8: BE9E00FF 80000000
	s_mov_b32 s7, 0x20000                                      // 0000000020D0: BE8700FF 00020000
	s_mov_b32 s11, 0x20000                                     // 0000000020D8: BE8B00FF 00020000
	s_mov_b32 s23, 0x20000                                     // 0000000020E0: BE9700FF 00020000
	s_mov_b32 s27, 0x20000                                     // 0000000020E8: BE9B00FF 00020000
	s_mov_b32 s31, 0x20000                                     // 0000000020F0: BE9F00FF 00020000
	s_and_b32 s5, s5, 0xffff                                   // 0000000020F8: 8605FF05 0000FFFF
	s_and_b32 s9, s9, 0xffff                                   // 000000002100: 8609FF09 0000FFFF
	s_and_b32 s21, s21, 0xffff                                 // 000000002108: 8615FF15 0000FFFF
	s_and_b32 s25, s25, 0xffff                                 // 000000002110: 8619FF19 0000FFFF
	s_and_b32 s29, s29, 0xffff                                 // 000000002118: 861DFF1D 0000FFFF
	s_or_b32 s5, s5, 0x40000                                   // 000000002120: 8705FF05 00040000
	s_or_b32 s9, s9, 0x40000                                   // 000000002128: 8709FF09 00040000
	s_or_b32 s21, s21, 0x40000                                 // 000000002130: 8715FF15 00040000
	s_or_b32 s25, s25, 0x40000                                 // 000000002138: 8719FF19 00040000
	s_or_b32 s29, s29, 0x40000                                 // 000000002140: 871DFF1D 00040000
	s_mov_b32 s56, s41                                         // 000000002148: BEB80029
	s_mov_b32 s57, s38                                         // 00000000214C: BEB90026
	v_cvt_f32_u32_e32 v4, s57                                  // 000000002150: 7E080C39
	s_sub_i32 s47, 0, s57                                      // 000000002154: 81AF3980
	v_rcp_iflag_f32_e32 v4, v4                                 // 000000002158: 7E084704
	s_nop 0                                                    // 00000000215C: BF800000
	v_mul_f32_e32 v4, 0x4f7ffffe, v4                           // 000000002160: 0A0808FF 4F7FFFFE
	v_cvt_u32_f32_e32 v4, v4                                   // 000000002168: 7E080F04
	v_mul_lo_u32 v5, s47, v4                                   // 00000000216C: D2850005 0002082F
	v_mul_hi_u32 v5, v4, v5                                    // 000000002174: D2860005 00020B04
	v_add_u32_e32 v4, v4, v5                                   // 00000000217C: 68080B04
	v_mul_hi_u32 v4, s56, v4                                   // 000000002180: D2860004 00020838
	v_mul_lo_u32 v5, v4, s57                                   // 000000002188: D2850005 00007304
	v_sub_u32_e32 v7, s56, v5                                  // 000000002190: 6A0E0A38
	v_add_u32_e32 v6, 1, v4                                    // 000000002194: 680C0881
	v_cmp_le_u32_e32 vcc, s57, v7                              // 000000002198: 7D960E39
	v_subrev_u32_e32 v5, s57, v7                               // 00000000219C: 6C0A0E39
	s_nop 0                                                    // 0000000021A0: BF800000
	v_cndmask_b32_e32 v4, v4, v6, vcc                          // 0000000021A4: 00080D04
	v_cndmask_b32_e32 v7, v7, v5, vcc                          // 0000000021A8: 000E0B07
	v_add_u32_e32 v5, 1, v4                                    // 0000000021AC: 680A0881
	v_cmp_le_u32_e32 vcc, s57, v7                              // 0000000021B0: 7D960E39
	s_nop 1                                                    // 0000000021B4: BF800001
	v_cndmask_b32_e32 v7, v4, v5, vcc                          // 0000000021B8: 000E0B04
	s_nop 3                                                    // 0000000021BC: BF800003
	v_readfirstlane_b32 s58, v7                                // 0000000021C0: 7E740507
	s_nop 3                                                    // 0000000021C4: BF800003
	s_mov_b32 s41, s58                                         // 0000000021C8: BEA9003A
	s_mul_i32 s47, s41, s38                                    // 0000000021CC: 922F2629
	s_sub_u32 s75, s56, s47                                    // 0000000021D0: 80CB2F38
	s_mov_b32 s56, s34                                         // 0000000021D4: BEB80022
	s_mov_b32 s57, s38                                         // 0000000021D8: BEB90026
	v_cvt_f32_u32_e32 v4, s57                                  // 0000000021DC: 7E080C39
	s_sub_i32 s47, 0, s57                                      // 0000000021E0: 81AF3980
	v_rcp_iflag_f32_e32 v4, v4                                 // 0000000021E4: 7E084704
	s_nop 0                                                    // 0000000021E8: BF800000
	v_mul_f32_e32 v4, 0x4f7ffffe, v4                           // 0000000021EC: 0A0808FF 4F7FFFFE
	v_cvt_u32_f32_e32 v4, v4                                   // 0000000021F4: 7E080F04
	v_mul_lo_u32 v5, s47, v4                                   // 0000000021F8: D2850005 0002082F
	v_mul_hi_u32 v5, v4, v5                                    // 000000002200: D2860005 00020B04
	v_add_u32_e32 v4, v4, v5                                   // 000000002208: 68080B04
	v_mul_hi_u32 v4, s56, v4                                   // 00000000220C: D2860004 00020838
	v_mul_lo_u32 v5, v4, s57                                   // 000000002214: D2850005 00007304
	v_sub_u32_e32 v7, s56, v5                                  // 00000000221C: 6A0E0A38
	v_add_u32_e32 v6, 1, v4                                    // 000000002220: 680C0881
	v_cmp_le_u32_e32 vcc, s57, v7                              // 000000002224: 7D960E39
	v_subrev_u32_e32 v5, s57, v7                               // 000000002228: 6C0A0E39
	s_nop 0                                                    // 00000000222C: BF800000
	v_cndmask_b32_e32 v4, v4, v6, vcc                          // 000000002230: 00080D04
	v_cndmask_b32_e32 v7, v7, v5, vcc                          // 000000002234: 000E0B07
	v_add_u32_e32 v5, 1, v4                                    // 000000002238: 680A0881
	v_cmp_le_u32_e32 vcc, s57, v7                              // 00000000223C: 7D960E39
	s_nop 1                                                    // 000000002240: BF800001
	v_cndmask_b32_e32 v7, v4, v5, vcc                          // 000000002244: 000E0B04
	s_nop 3                                                    // 000000002248: BF800003
	v_readfirstlane_b32 s58, v7                                // 00000000224C: 7E740507
	s_nop 3                                                    // 000000002250: BF800003
	s_add_u32 s58, 0x7f, s58                                   // 000000002254: 803A3AFF 0000007F
	s_lshr_b32 s58, s58, 7                                     // 00000000225C: 8F3A873A
	s_lshl_b32 s76, s58, 7                                     // 000000002260: 8E4C873A
	s_mul_i32 s48, s76, s75                                    // 000000002264: 92304B4C
	s_sub_i32 s47, s34, s48                                    // 000000002268: 81AF3022
	s_cmp_lt_i32 s47, s76                                      // 00000000226C: BF044C2F
	s_cselect_b32 s34, s47, s76                                // 000000002270: 85224C2F
	s_mul_i32 s47, s42, 32                                     // 000000002274: 922FA02A
	s_mul_i32 s48, s47, s37                                    // 000000002278: 9230252F
	s_mul_hi_u32 s49, s47, s37                                 // 00000000227C: 9631252F
	s_add_u32 s16, s16, s48                                    // 000000002280: 80103010
	s_addc_u32 s17, s17, s49                                   // 000000002284: 82113111
	s_mul_i32 s47, s41, 0x80                                   // 000000002288: 922FFF29 00000080
	s_mul_i32 s48, s47, 2                                      // 000000002290: 9230822F
	s_mul_hi_u32 s49, s47, 2                                   // 000000002294: 9631822F
	s_add_u32 s16, s16, s48                                    // 000000002298: 80103010
	s_addc_u32 s17, s17, s49                                   // 00000000229C: 82113111
	s_mov_b32 s80, s16                                         // 0000000022A0: BED00010
	s_mov_b32 s81, s17                                         // 0000000022A4: BED10011
	s_mul_i32 s47, s42, 32                                     // 0000000022A8: 922FA02A
	s_sub_i32 s48, s32, s47                                    // 0000000022AC: 81B02F20
	s_cmp_lt_u32 s48, 32                                       // 0000000022B0: BF0AA030
	s_cselect_b32 s47, s48, 32                                 // 0000000022B4: 852FA030
	s_mul_i32 s48, s47, s37                                    // 0000000022B8: 9230252F
	s_mov_b32 s18, s48                                         // 0000000022BC: BE920030
	s_mov_b32 s82, 0x80000000                                  // 0000000022C0: BED200FF 80000000
	s_mov_b32 s19, 0x20000                                     // 0000000022C8: BE9300FF 00020000
	s_and_b32 s17, s17, 0xffff                                 // 0000000022D0: 8611FF11 0000FFFF
	s_and_b32 s81, s81, 0xffff                                 // 0000000022D8: 8651FF51 0000FFFF
	s_or_b32 s17, s17, 0x40000                                 // 0000000022E0: 8711FF11 00040000
	s_mov_b32 s45, 0x7060302                                   // 0000000022E8: BEAD00FF 07060302
	v_mov_b32_e32 v13, 0xffff0000                              // 0000000022F0: 7E1A02FF FFFF0000
	v_mov_b32_e32 v14, 0x7fff0000                              // 0000000022F8: 7E1C02FF 7FFF0000
	v_mov_b32_e32 v15, 0x7fff                                  // 000000002300: 7E1E02FF 00007FFF
	s_mul_i32 s47, 0x80, s41                                   // 000000002308: 922F29FF 00000080
	s_mul_hi_u32 s48, 4, s47                                   // 000000002310: 96302F84
	s_add_u32 s29, s29, s48                                    // 000000002314: 801D301D
	s_mul_i32 s48, 4, s47                                      // 000000002318: 92302F84
	s_add_u32 s28, s28, s48                                    // 00000000231C: 801C301C
	s_addc_u32 s29, s29, 0                                     // 000000002320: 821D801D
	s_sub_i32 s48, s33, s47                                    // 000000002324: 81B02F21
	s_cmp_lt_u32 s48, 0x80                                     // 000000002328: BF0AFF30 00000080
	s_cselect_b32 s47, s48, 0x80                               // 000000002330: 852FFF30 00000080
	s_mul_i32 s48, 4, s47                                      // 000000002338: 92302F84
	s_mov_b32 s30, s48                                         // 00000000233C: BE9E0030
	s_mov_b32 s31, 0x20000                                     // 000000002340: BE9F00FF 00020000
	v_lshrrev_b32_e32 v4, 4, v0                                // 000000002348: 20080084
	v_lshlrev_b32_e32 v4, 4, v4                                // 00000000234C: 24080884
	s_mul_i32 s49, s44, 0x80                                   // 000000002350: 9231FF2C 00000080
	v_add_u32_e64 v74, v4, s49                                 // 000000002358: D134004A 00006304
	v_add_u32_e64 v75, v74, 64                                 // 000000002360: D134004B 0001814A
	buffer_load_dwordx4 v[76:79], v74, s[28:31], 0 offen       // 000000002368: E05C1000 80074C4A
	buffer_load_dwordx4 v[80:83], v75, s[28:31], 0 offen       // 000000002370: E05C1000 8007504B
	s_mul_i32 s47, 32, s42                                     // 000000002378: 922F2AA0
	s_mul_hi_u32 s48, 4, s47                                   // 00000000237C: 96302F84
	s_add_u32 s21, s21, s48                                    // 000000002380: 80153015
	s_mul_i32 s48, 4, s47                                      // 000000002384: 92302F84
	s_add_u32 s20, s20, s48                                    // 000000002388: 80143014
	s_addc_u32 s21, s21, 0                                     // 00000000238C: 82158015
	s_sub_i32 s48, s32, s47                                    // 000000002390: 81B02F20
	s_cmp_lt_u32 s48, 32                                       // 000000002394: BF0AA030
	s_cselect_b32 s47, s48, 32                                 // 000000002398: 852FA030
	s_mul_i32 s48, 4, s47                                      // 00000000239C: 92302F84
	s_mov_b32 s22, s48                                         // 0000000023A0: BE960030
	s_mov_b32 s23, 0x20000                                     // 0000000023A4: BE9700FF 00020000
	v_and_b32_e64 v70, v0, 15                                  // 0000000023AC: D1130046 00011F00
	v_lshlrev_b32_e32 v70, 2, v70                              // 0000000023B4: 248C8C82
	buffer_load_dword v58, v70, s[20:23], 0 offen              // 0000000023B8: E0501000 80053A46
	buffer_load_dword v59, v70, s[20:23], 0 offen offset:64    // 0000000023C0: E0501040 80053B46
	s_mul_i32 s47, 0x80, s41                                   // 0000000023C8: 922F29FF 00000080
	s_mul_hi_u32 s48, 4, s47                                   // 0000000023D0: 96302F84
	s_add_u32 s25, s25, s48                                    // 0000000023D4: 80193019
	s_mul_i32 s48, 4, s47                                      // 0000000023D8: 92302F84
	s_add_u32 s24, s24, s48                                    // 0000000023DC: 80183018
	s_addc_u32 s25, s25, 0                                     // 0000000023E0: 82198019
	s_sub_i32 s48, s33, s47                                    // 0000000023E4: 81B02F21
	s_cmp_lt_u32 s48, 0x80                                     // 0000000023E8: BF0AFF30 00000080
	s_cselect_b32 s47, s48, 0x80                               // 0000000023F0: 852FFF30 00000080
	s_mul_i32 s48, 4, s47                                      // 0000000023F8: 92302F84
	s_mov_b32 s26, s48                                         // 0000000023FC: BE9A0030
	s_mov_b32 s27, 0x20000                                     // 000000002400: BE9B00FF 00020000
	v_lshrrev_b32_e32 v4, 4, v0                                // 000000002408: 20080084
	v_lshlrev_b32_e32 v4, 4, v4                                // 00000000240C: 24080884
	s_mul_i32 s49, s44, 0x80                                   // 000000002410: 9231FF2C 00000080
	v_add_u32_e64 v72, v4, s49                                 // 000000002418: D1340048 00006304
	v_add_u32_e64 v73, v72, 64                                 // 000000002420: D1340049 00018148
	buffer_load_dwordx4 v[62:65], v72, s[24:27], 0 offen       // 000000002428: E05C1000 80063E48
	buffer_load_dwordx4 v[66:69], v73, s[24:27], 0 offen       // 000000002430: E05C1000 80064249
	v_lshrrev_b32_e32 v4, 5, v0                                // 000000002438: 20080085
	v_lshlrev_b32_e32 v4, 2, v4                                // 00000000243C: 24080882
	v_mul_i32_i24_e32 v4, s35, v4                              // 000000002440: 0C080823
	v_and_b32_e32 v22, 31, v0                                  // 000000002444: 262C009F
	v_lshlrev_b32_e32 v22, 2, v22                              // 000000002448: 242C2C82
	s_mul_i32 s47, 32, s42                                     // 00000000244C: 922F2AA0
	s_sub_i32 s48, s32, s47                                    // 000000002450: 81B02F20
	s_cmp_lt_u32 s48, 32                                       // 000000002454: BF0AA030
	s_cselect_b32 s48, s48, 32                                 // 000000002458: 8530A030
	s_mul_i32 s49, s35, s47                                    // 00000000245C: 92312F23
	s_mul_hi_u32 s47, s35, s47                                 // 000000002460: 962F2F23
	s_add_u32 s4, s4, s49                                      // 000000002464: 80043104
	s_addc_u32 s5, s5, s47                                     // 000000002468: 82052F05
	s_mul_i32 s47, s35, s48                                    // 00000000246C: 922F3023
	s_mov_b32 s6, s47                                          // 000000002470: BE86002F
	s_mov_b32 s7, 0x20000                                      // 000000002474: BE8700FF 00020000
	s_mul_i32 s48, s76, s75                                    // 00000000247C: 92304B4C
	s_add_u32 s4, s48, s4                                      // 000000002480: 80040430
	s_addc_u32 s5, 0, s5                                       // 000000002484: 82050580
	s_sub_u32 s6, s6, s48                                      // 000000002488: 80863006
	s_mul_i32 s47, s35, s44                                    // 00000000248C: 922F2C23
	v_add3_u32 v22, v4, v22, s47                               // 000000002490: D1FF0016 00BE2D04
	s_lshl_b32 s47, s35, 3                                     // 000000002498: 8E2F8323
	v_add_u32_e32 v23, s47, v22                                // 00000000249C: 682E2C2F
	v_add_u32_e32 v24, s47, v23                                // 0000000024A0: 68302E2F
	v_add_u32_e32 v25, s47, v24                                // 0000000024A4: 6832302F
	s_mov_b32 s51, 0x80                                        // 0000000024A8: BEB300FF 00000080
	s_mov_b32 s47, 32                                          // 0000000024B0: BEAF00A0
	s_lshr_b32 s47, s47, 2                                     // 0000000024B4: 8F2F822F
	s_mul_i32 s47, s47, 32                                     // 0000000024B8: 922FA02F
	s_mov_b32 s48, 8                                           // 0000000024BC: BEB00088
	s_add_u32 s47, s47, s48                                    // 0000000024C0: 802F302F
	v_lshrrev_b32_e32 v4, 4, v0                                // 0000000024C4: 20080084
	v_and_b32_e32 v5, 15, v0                                   // 0000000024C8: 260A008F
	v_and_b32_e32 v6, 3, v5                                    // 0000000024CC: 260C0A83
	v_lshrrev_b32_e32 v7, 2, v5                                // 0000000024D0: 200E0A82
	v_lshlrev_b32_e32 v4, 2, v4                                // 0000000024D4: 24080882
	v_mul_lo_u32 v6, v6, s47                                   // 0000000024D8: D2850006 00005F06
	v_lshlrev_b32_e32 v7, 5, v7                                // 0000000024E0: 240E0E85
	v_add_u32_e32 v4, v4, v6                                   // 0000000024E4: 68080D04
	v_add_u32_e32 v4, v4, v7                                   // 0000000024E8: 68080F04
	v_lshlrev_b32_e32 v26, 2, v4                               // 0000000024EC: 24340882
	s_mul_i32 s47, 0x420, s44                                  // 0000000024F0: 922F2CFF 00000420
	s_add_u32 s53, 0, s47                                      // 0000000024F8: 80352F80
	s_add_u32 s54, 0x1080, s53                                 // 0000000024FC: 803635FF 00001080
	s_add_u32 s55, 0x1080, s54                                 // 000000002504: 803736FF 00001080
	s_mov_b32 s52, 0x800                                       // 00000000250C: BEB400FF 00000800
	s_mul_i32 s46, 0x80, s41                                   // 000000002514: 922E29FF 00000080
	s_sub_i32 s48, s33, s46                                    // 00000000251C: 81B02E21
	s_cmp_lt_u32 s48, 0x80                                     // 000000002520: BF0AFF30 00000080
	s_cselect_b32 s47, s48, 0x80                               // 000000002528: 852FFF30 00000080
	s_mul_i32 s48, s36, s46                                    // 000000002530: 92302E24
	s_mul_hi_u32 s49, s36, s46                                 // 000000002534: 96312E24
	s_add_u32 s8, s8, s48                                      // 000000002538: 80083008
	s_addc_u32 s9, s9, s49                                     // 00000000253C: 82093109
	s_mul_i32 s48, s36, s47                                    // 000000002540: 92302F24
	s_mov_b32 s10, s48                                         // 000000002544: BE8A0030
	s_mov_b32 s11, 0x20000                                     // 000000002548: BE8B00FF 00020000
	s_lshr_b32 s48, s76, 7                                     // 000000002550: 8F30874C
	s_mul_i32 s47, s52, s75                                    // 000000002554: 922F4B34
	s_mul_i32 s47, s48, s47                                    // 000000002558: 922F2F30
	s_add_u32 s8, s47, s8                                      // 00000000255C: 8008082F
	s_addc_u32 s9, 0, s9                                       // 000000002560: 82090980
	s_sub_u32 s10, s10, s47                                    // 000000002564: 808A2F0A
	s_lshl_b32 s47, s44, 5                                     // 000000002568: 8E2F852C
	s_mul_i32 s47, s36, s47                                    // 00000000256C: 922F2F24
	v_lshlrev_b32_e32 v28, 4, v0                               // 000000002570: 24380084
	v_add_u32_e32 v28, s47, v28                                // 000000002574: 6838382F
	s_mov_b32 s47, 0x400                                       // 000000002578: BEAF00FF 00000400
	v_add_u32_e64 v29, v28, s47                                // 000000002580: D134001D 00005F1C
	s_mul_i32 s47, s36, 16                                     // 000000002588: 922F9024
	v_add_u32_e64 v30, v28, s47                                // 00000000258C: D134001E 00005F1C
	v_add_u32_e64 v31, v29, s47                                // 000000002594: D134001F 00005F1D
	s_add_u32 m0, 0, s53                                       // 00000000259C: 807C3580
	buffer_load_dword v22, s[4:7], 0 offen lds                 // 0000000025A0: E0511000 80010016
	s_add_u32 m0, 0x100, s53                                   // 0000000025A8: 807C35FF 00000100
	buffer_load_dword v23, s[4:7], 0 offen lds                 // 0000000025B0: E0511000 80010017
	s_add_u32 m0, 0x200, s53                                   // 0000000025B8: 807C35FF 00000200
	buffer_load_dword v24, s[4:7], 0 offen lds                 // 0000000025C0: E0511000 80010018
	s_add_u32 m0, 0x300, s53                                   // 0000000025C8: 807C35FF 00000300
	buffer_load_dword v25, s[4:7], 0 offen lds                 // 0000000025D0: E0511000 80010019
	s_mov_b32 s50, 0                                           // 0000000025D8: BEB20080
	s_add_u32 s47, 0x80, s50                                   // 0000000025DC: 802F32FF 00000080
	s_cmp_lt_u32 s47, s34                                      // 0000000025E4: BF0A222F
	s_cselect_b32 s51, s51, 0                                  // 0000000025E8: 85338033
	s_add_u32 s4, s51, s4                                      // 0000000025EC: 80040433
	s_addc_u32 s5, 0, s5                                       // 0000000025F0: 82050580
	s_sub_u32 s6, s6, s51                                      // 0000000025F4: 80863306
	v_mov_b32_e32 v34, 0                                       // 0000000025F8: 7E440280
	v_mov_b32_e32 v35, 0                                       // 0000000025FC: 7E460280
	v_mov_b32_e32 v36, 0                                       // 000000002600: 7E480280
	v_mov_b32_e32 v37, 0                                       // 000000002604: 7E4A0280
	v_mov_b32_e32 v38, 0                                       // 000000002608: 7E4C0280
	v_mov_b32_e32 v39, 0                                       // 00000000260C: 7E4E0280
	v_mov_b32_e32 v40, 0                                       // 000000002610: 7E500280
	v_mov_b32_e32 v41, 0                                       // 000000002614: 7E520280
	buffer_load_dwordx4 a[0:3], v28, s[8:11], 0 offen          // 000000002618: E05C1000 8082001C
	buffer_load_dwordx4 a[4:7], v29, s[8:11], 0 offen          // 000000002620: E05C1000 8082041D
	buffer_load_dwordx4 a[8:11], v30, s[8:11], 0 offen         // 000000002628: E05C1000 8082081E
	buffer_load_dwordx4 a[12:15], v31, s[8:11], 0 offen        // 000000002630: E05C1000 80820C1F
	s_mov_b32 s50, 0                                           // 000000002638: BEB20080
	s_add_u32 s47, 0x80, s50                                   // 00000000263C: 802F32FF 00000080
	s_cmp_lt_u32 s47, s34                                      // 000000002644: BF0A222F
	s_cselect_b32 s52, s52, 0                                  // 000000002648: 85348034
	s_add_u32 s8, s52, s8                                      // 00000000264C: 80080834
	s_addc_u32 s9, 0, s9                                       // 000000002650: 82090980
	s_sub_u32 s10, s10, s52                                    // 000000002654: 808A340A
	s_add_u32 m0, 0, s54                                       // 000000002658: 807C3680
	buffer_load_dword v22, s[4:7], 0 offen lds                 // 00000000265C: E0511000 80010016
	s_add_u32 m0, 0x100, s54                                   // 000000002664: 807C36FF 00000100
	buffer_load_dword v23, s[4:7], 0 offen lds                 // 00000000266C: E0511000 80010017
	s_add_u32 m0, 0x200, s54                                   // 000000002674: 807C36FF 00000200
	buffer_load_dword v24, s[4:7], 0 offen lds                 // 00000000267C: E0511000 80010018
	s_add_u32 m0, 0x300, s54                                   // 000000002684: 807C36FF 00000300
	buffer_load_dword v25, s[4:7], 0 offen lds                 // 00000000268C: E0511000 80010019
	s_mov_b32 s50, 0x80                                        // 000000002694: BEB200FF 00000080
	s_add_u32 s47, 0x80, s50                                   // 00000000269C: 802F32FF 00000080
	s_cmp_lt_u32 s47, s34                                      // 0000000026A4: BF0A222F
	s_cselect_b32 s51, s51, 0                                  // 0000000026A8: 85338033
	s_add_u32 s4, s51, s4                                      // 0000000026AC: 80040433
	s_addc_u32 s5, 0, s5                                       // 0000000026B0: 82050580
	s_sub_u32 s6, s6, s51                                      // 0000000026B4: 80863306
	v_mov_b32_e32 v42, 0                                       // 0000000026B8: 7E540280
	v_mov_b32_e32 v43, 0                                       // 0000000026BC: 7E560280
	v_mov_b32_e32 v44, 0                                       // 0000000026C0: 7E580280
	v_mov_b32_e32 v45, 0                                       // 0000000026C4: 7E5A0280
	v_mov_b32_e32 v46, 0                                       // 0000000026C8: 7E5C0280
	v_mov_b32_e32 v47, 0                                       // 0000000026CC: 7E5E0280
	v_mov_b32_e32 v48, 0                                       // 0000000026D0: 7E600280
	v_mov_b32_e32 v49, 0                                       // 0000000026D4: 7E620280
	buffer_load_dwordx4 a[16:19], v28, s[8:11], 0 offen        // 0000000026D8: E05C1000 8082101C
	buffer_load_dwordx4 a[20:23], v29, s[8:11], 0 offen        // 0000000026E0: E05C1000 8082141D
	buffer_load_dwordx4 a[24:27], v30, s[8:11], 0 offen        // 0000000026E8: E05C1000 8082181E
	buffer_load_dwordx4 a[28:31], v31, s[8:11], 0 offen        // 0000000026F0: E05C1000 80821C1F
	s_mov_b32 s50, 0x80                                        // 0000000026F8: BEB200FF 00000080
	s_add_u32 s47, 0x80, s50                                   // 000000002700: 802F32FF 00000080
	s_cmp_lt_u32 s47, s34                                      // 000000002708: BF0A222F
	s_cselect_b32 s52, s52, 0                                  // 00000000270C: 85348034
	s_add_u32 s8, s52, s8                                      // 000000002710: 80080834
	s_addc_u32 s9, 0, s9                                       // 000000002714: 82090980
	s_sub_u32 s10, s10, s52                                    // 000000002718: 808A340A
	s_add_u32 m0, 0, s55                                       // 00000000271C: 807C3780
	buffer_load_dword v22, s[4:7], 0 offen lds                 // 000000002720: E0511000 80010016
	s_add_u32 m0, 0x100, s55                                   // 000000002728: 807C37FF 00000100
	buffer_load_dword v23, s[4:7], 0 offen lds                 // 000000002730: E0511000 80010017
	s_add_u32 m0, 0x200, s55                                   // 000000002738: 807C37FF 00000200
	;; [unrolled: 2-line block ×3, first 2 shown]
	buffer_load_dword v25, s[4:7], 0 offen lds                 // 000000002750: E0511000 80010019
	s_mov_b32 s50, 0x100                                       // 000000002758: BEB200FF 00000100
	s_add_u32 s47, 0x80, s50                                   // 000000002760: 802F32FF 00000080
	s_cmp_lt_u32 s47, s34                                      // 000000002768: BF0A222F
	s_cselect_b32 s51, s51, 0                                  // 00000000276C: 85338033
	s_add_u32 s4, s51, s4                                      // 000000002770: 80040433
	s_addc_u32 s5, 0, s5                                       // 000000002774: 82050580
	s_sub_u32 s6, s6, s51                                      // 000000002778: 80863306
	s_mov_b32 s40, s34                                         // 00000000277C: BEA80022
	s_mov_b32 s39, 0                                           // 000000002780: BEA70080
	s_waitcnt vmcnt(16)                                        // 000000002784: BF8C4F70
	s_barrier                                                  // 000000002788: BF8A0000
	ds_read_b128 a[48:51], v26                                 // 00000000278C: DBFE0000 3000001A
	ds_read_b128 a[52:55], v26 offset:64                       // 000000002794: DBFE0040 3400001A
	ds_read_b128 a[56:59], v26 offset:512                      // 00000000279C: DBFE0200 3800001A
	ds_read_b128 a[60:63], v26 offset:576                      // 0000000027A4: DBFE0240 3C00001A
	s_mov_b32 s47, 0                                           // 0000000027AC: BEAF0080
	s_mov_b32 s48, 1.0                                         // 0000000027B0: BEB000F2
	s_cmp_eq_u32 s47, s75                                      // 0000000027B4: BF064B2F
	s_cselect_b32 s47, s48, 0                                  // 0000000027B8: 852F8030
	v_mul_f32_e64 v76, v76, s47                                // 0000000027BC: D105004C 00005F4C
	v_mul_f32_e64 v77, v77, s47                                // 0000000027C4: D105004D 00005F4D
	v_mul_f32_e64 v78, v78, s47                                // 0000000027CC: D105004E 00005F4E
	v_mul_f32_e64 v79, v79, s47                                // 0000000027D4: D105004F 00005F4F
	v_mul_f32_e64 v80, v80, s47                                // 0000000027DC: D1050050 00005F50
	v_mul_f32_e64 v81, v81, s47                                // 0000000027E4: D1050051 00005F51
	v_mul_f32_e64 v82, v82, s47                                // 0000000027EC: D1050052 00005F52
	v_mul_f32_e64 v83, v83, s47                                // 0000000027F4: D1050053 00005F53
	v_and_b32_e64 v16, v0, 15                                  // 0000000027FC: D1130010 00011F00
	v_mul_lo_u32 v16, v16, s37                                 // 000000002804: D2850010 00004B10
	v_lshrrev_b32_e32 v4, 4, v0                                // 00000000280C: 20080084
	v_mul_i32_i24_e32 v4, 8, v4                                // 000000002810: 0C080888
	v_add_u32_e32 v16, v4, v16                                 // 000000002814: 68202104
	s_mul_i32 s47, 32, s44                                     // 000000002818: 922F2CA0
	s_mul_i32 s47, 2, s47                                      // 00000000281C: 922F2F82
	v_add_u32_e32 v16, s47, v16                                // 000000002820: 6820202F
	s_mul_i32 s47, 16, s37                                     // 000000002824: 922F2590
	v_add_u32_e32 v17, s47, v16                                // 000000002828: 6822202F
	s_mul_i32 s47, s44, s37                                    // 00000000282C: 922F252C
	v_lshlrev_b32_e32 v5, 2, v0                                // 000000002830: 240A0082
	v_add_u32_e32 v18, s47, v5                                 // 000000002834: 68240A2F
	s_mul_i32 s47, s42, 32                                     // 000000002838: 922FA02A
	s_add_i32 s77, s47, s44                                    // 00000000283C: 814D2C2F
	s_cmp_lt_i32 s39, s40                                      // 000000002840: BF042827
	s_cbranch_scc0 label_03FF                                  // 000000002844: BF8401ED

0000000000002848 <label_0212>:
	s_waitcnt vmcnt(8) lgkmcnt(0)                              // 000000002848: BF8C0078
	s_barrier                                                  // 00000000284C: BF8A0000
	v_mfma_i32_16x16x32_i8 v[34:37], a[0:1], a[48:49], v[34:37]// 000000002850: D3D70022 1C8A6100
	s_add_u32 m0, 0, s53                                       // 000000002858: 807C3580
	buffer_load_dword v22, s[4:7], 0 offen lds                 // 00000000285C: E0511000 80010016
	v_mfma_i32_16x16x32_i8 v[34:37], a[2:3], a[50:51], v[34:37]// 000000002864: D3D70022 1C8A6502
	ds_read_b128 a[64:67], v26 offset:4224                     // 00000000286C: DBFE1080 4000001A
	v_mfma_i32_16x16x32_i8 v[34:37], a[4:5], a[52:53], v[34:37]// 000000002874: D3D70022 1C8A6904
	s_add_u32 m0, 0x100, s53                                   // 00000000287C: 807C35FF 00000100
	buffer_load_dword v23, s[4:7], 0 offen lds                 // 000000002884: E0511000 80010017
	v_mfma_i32_16x16x32_i8 v[34:37], a[6:7], a[54:55], v[34:37]// 00000000288C: D3D70022 1C8A6D06
	ds_read_b128 a[68:71], v26 offset:4288                     // 000000002894: DBFE10C0 4400001A
	v_mfma_i32_16x16x32_i8 v[38:41], a[8:9], a[48:49], v[38:41]// 00000000289C: D3D70026 1C9A6108
	buffer_load_dwordx4 a[32:35], v28, s[8:11], 0 offen        // 0000000028A4: E05C1000 8082201C
	v_mfma_i32_16x16x32_i8 v[38:41], a[10:11], a[50:51], v[38:41]// 0000000028AC: D3D70026 1C9A650A
	v_mfma_i32_16x16x32_i8 v[38:41], a[12:13], a[52:53], v[38:41]// 0000000028B4: D3D70026 1C9A690C
	buffer_load_dwordx4 a[36:39], v29, s[8:11], 0 offen        // 0000000028BC: E05C1000 8082241D
	v_mfma_i32_16x16x32_i8 v[38:41], a[14:15], a[54:55], v[38:41]// 0000000028C4: D3D70026 1C9A6D0E
	v_mfma_i32_16x16x32_i8 v[42:45], a[0:1], a[56:57], v[42:45]// 0000000028CC: D3D7002A 1CAA7100
	s_add_u32 m0, 0x200, s53                                   // 0000000028D4: 807C35FF 00000200
	buffer_load_dword v24, s[4:7], 0 offen lds                 // 0000000028DC: E0511000 80010018
	v_mfma_i32_16x16x32_i8 v[42:45], a[2:3], a[58:59], v[42:45]// 0000000028E4: D3D7002A 1CAA7502
	ds_read_b128 a[72:75], v26 offset:4736                     // 0000000028EC: DBFE1280 4800001A
	v_mfma_i32_16x16x32_i8 v[42:45], a[4:5], a[60:61], v[42:45]// 0000000028F4: D3D7002A 1CAA7904
	s_add_u32 m0, 0x300, s53                                   // 0000000028FC: 807C35FF 00000300
	buffer_load_dword v25, s[4:7], 0 offen lds                 // 000000002904: E0511000 80010019
	v_mfma_i32_16x16x32_i8 v[42:45], a[6:7], a[62:63], v[42:45]// 00000000290C: D3D7002A 1CAA7D06
	ds_read_b128 a[76:79], v26 offset:4800                     // 000000002914: DBFE12C0 4C00001A
	v_mfma_i32_16x16x32_i8 v[46:49], a[8:9], a[56:57], v[46:49]// 00000000291C: D3D7002E 1CBA7108
	buffer_load_dwordx4 a[40:43], v30, s[8:11], 0 offen        // 000000002924: E05C1000 8082281E
	v_mfma_i32_16x16x32_i8 v[46:49], a[10:11], a[58:59], v[46:49]// 00000000292C: D3D7002E 1CBA750A
	s_add_u32 s47, 0x200, s39                                  // 000000002934: 802F27FF 00000200
	s_cmp_lt_u32 s47, s40                                      // 00000000293C: BF0A282F
	s_cselect_b32 s51, s51, 0                                  // 000000002940: 85338033
	s_add_u32 s47, 0x180, s39                                  // 000000002944: 802F27FF 00000180
	s_cmp_lt_u32 s47, s40                                      // 00000000294C: BF0A282F
	s_cselect_b32 s52, s52, 0                                  // 000000002950: 85348034
	v_mfma_i32_16x16x32_i8 v[46:49], a[12:13], a[60:61], v[46:49]// 000000002954: D3D7002E 1CBA790C
	buffer_load_dwordx4 a[44:47], v31, s[8:11], 0 offen        // 00000000295C: E05C1000 80822C1F
	v_mfma_i32_16x16x32_i8 v[46:49], a[14:15], a[62:63], v[46:49]// 000000002964: D3D7002E 1CBA7D0E
	s_add_u32 s4, s51, s4                                      // 00000000296C: 80040433
	s_addc_u32 s5, 0, s5                                       // 000000002970: 82050580
	s_sub_u32 s6, s6, s51                                      // 000000002974: 80863306
	s_add_u32 s8, s52, s8                                      // 000000002978: 80080834
	s_addc_u32 s9, 0, s9                                       // 00000000297C: 82090980
	s_sub_u32 s10, s10, s52                                    // 000000002980: 808A340A
	s_addk_i32 s39, 0x80                                       // 000000002984: B7270080
	s_cmp_lt_i32 s39, s40                                      // 000000002988: BF042827
	s_cbranch_scc0 label_03FF                                  // 00000000298C: BF84019B
	s_waitcnt vmcnt(8) lgkmcnt(0)                              // 000000002990: BF8C0078
	s_barrier                                                  // 000000002994: BF8A0000
	v_mfma_i32_16x16x32_i8 v[34:37], a[16:17], a[64:65], v[34:37]// 000000002998: D3D70022 1C8A8110
	s_add_u32 m0, 0, s54                                       // 0000000029A0: 807C3680
	buffer_load_dword v22, s[4:7], 0 offen lds                 // 0000000029A4: E0511000 80010016
	v_mfma_i32_16x16x32_i8 v[34:37], a[18:19], a[66:67], v[34:37]// 0000000029AC: D3D70022 1C8A8512
	ds_read_b128 a[48:51], v26 offset:8448                     // 0000000029B4: DBFE2100 3000001A
	v_mfma_i32_16x16x32_i8 v[34:37], a[20:21], a[68:69], v[34:37]// 0000000029BC: D3D70022 1C8A8914
	s_add_u32 m0, 0x100, s54                                   // 0000000029C4: 807C36FF 00000100
	buffer_load_dword v23, s[4:7], 0 offen lds                 // 0000000029CC: E0511000 80010017
	v_mfma_i32_16x16x32_i8 v[34:37], a[22:23], a[70:71], v[34:37]// 0000000029D4: D3D70022 1C8A8D16
	ds_read_b128 a[52:55], v26 offset:8512                     // 0000000029DC: DBFE2140 3400001A
	v_mfma_i32_16x16x32_i8 v[38:41], a[24:25], a[64:65], v[38:41]// 0000000029E4: D3D70026 1C9A8118
	buffer_load_dwordx4 a[0:3], v28, s[8:11], 0 offen          // 0000000029EC: E05C1000 8082001C
	v_mfma_i32_16x16x32_i8 v[38:41], a[26:27], a[66:67], v[38:41]// 0000000029F4: D3D70026 1C9A851A
	v_mfma_i32_16x16x32_i8 v[38:41], a[28:29], a[68:69], v[38:41]// 0000000029FC: D3D70026 1C9A891C
	buffer_load_dwordx4 a[4:7], v29, s[8:11], 0 offen          // 000000002A04: E05C1000 8082041D
	v_mfma_i32_16x16x32_i8 v[38:41], a[30:31], a[70:71], v[38:41]// 000000002A0C: D3D70026 1C9A8D1E
	v_mfma_i32_16x16x32_i8 v[42:45], a[16:17], a[72:73], v[42:45]// 000000002A14: D3D7002A 1CAA9110
	s_add_u32 m0, 0x200, s54                                   // 000000002A1C: 807C36FF 00000200
	buffer_load_dword v24, s[4:7], 0 offen lds                 // 000000002A24: E0511000 80010018
	v_mfma_i32_16x16x32_i8 v[42:45], a[18:19], a[74:75], v[42:45]// 000000002A2C: D3D7002A 1CAA9512
	ds_read_b128 a[56:59], v26 offset:8960                     // 000000002A34: DBFE2300 3800001A
	v_mfma_i32_16x16x32_i8 v[42:45], a[20:21], a[76:77], v[42:45]// 000000002A3C: D3D7002A 1CAA9914
	s_add_u32 m0, 0x300, s54                                   // 000000002A44: 807C36FF 00000300
	buffer_load_dword v25, s[4:7], 0 offen lds                 // 000000002A4C: E0511000 80010019
	v_mfma_i32_16x16x32_i8 v[42:45], a[22:23], a[78:79], v[42:45]// 000000002A54: D3D7002A 1CAA9D16
	ds_read_b128 a[60:63], v26 offset:9024                     // 000000002A5C: DBFE2340 3C00001A
	v_mfma_i32_16x16x32_i8 v[46:49], a[24:25], a[72:73], v[46:49]// 000000002A64: D3D7002E 1CBA9118
	buffer_load_dwordx4 a[8:11], v30, s[8:11], 0 offen         // 000000002A6C: E05C1000 8082081E
	v_mfma_i32_16x16x32_i8 v[46:49], a[26:27], a[74:75], v[46:49]// 000000002A74: D3D7002E 1CBA951A
	s_add_u32 s47, 0x200, s39                                  // 000000002A7C: 802F27FF 00000200
	s_cmp_lt_u32 s47, s40                                      // 000000002A84: BF0A282F
	s_cselect_b32 s51, s51, 0                                  // 000000002A88: 85338033
	s_add_u32 s47, 0x180, s39                                  // 000000002A8C: 802F27FF 00000180
	s_cmp_lt_u32 s47, s40                                      // 000000002A94: BF0A282F
	s_cselect_b32 s52, s52, 0                                  // 000000002A98: 85348034
	v_mfma_i32_16x16x32_i8 v[46:49], a[28:29], a[76:77], v[46:49]// 000000002A9C: D3D7002E 1CBA991C
	buffer_load_dwordx4 a[12:15], v31, s[8:11], 0 offen        // 000000002AA4: E05C1000 80820C1F
	v_mfma_i32_16x16x32_i8 v[46:49], a[30:31], a[78:79], v[46:49]// 000000002AAC: D3D7002E 1CBA9D1E
	s_add_u32 s4, s51, s4                                      // 000000002AB4: 80040433
	s_addc_u32 s5, 0, s5                                       // 000000002AB8: 82050580
	s_sub_u32 s6, s6, s51                                      // 000000002ABC: 80863306
	s_add_u32 s8, s52, s8                                      // 000000002AC0: 80080834
	s_addc_u32 s9, 0, s9                                       // 000000002AC4: 82090980
	s_sub_u32 s10, s10, s52                                    // 000000002AC8: 808A340A
	s_addk_i32 s39, 0x80                                       // 000000002ACC: B7270080
	s_cmp_lt_i32 s39, s40                                      // 000000002AD0: BF042827
	s_cbranch_scc0 label_03FF                                  // 000000002AD4: BF840149
	s_waitcnt vmcnt(8) lgkmcnt(0)                              // 000000002AD8: BF8C0078
	s_barrier                                                  // 000000002ADC: BF8A0000
	v_mfma_i32_16x16x32_i8 v[34:37], a[32:33], a[48:49], v[34:37]// 000000002AE0: D3D70022 1C8A6120
	s_add_u32 m0, 0, s55                                       // 000000002AE8: 807C3780
	buffer_load_dword v22, s[4:7], 0 offen lds                 // 000000002AEC: E0511000 80010016
	v_mfma_i32_16x16x32_i8 v[34:37], a[34:35], a[50:51], v[34:37]// 000000002AF4: D3D70022 1C8A6522
	ds_read_b128 a[64:67], v26                                 // 000000002AFC: DBFE0000 4000001A
	v_mfma_i32_16x16x32_i8 v[34:37], a[36:37], a[52:53], v[34:37]// 000000002B04: D3D70022 1C8A6924
	s_add_u32 m0, 0x100, s55                                   // 000000002B0C: 807C37FF 00000100
	buffer_load_dword v23, s[4:7], 0 offen lds                 // 000000002B14: E0511000 80010017
	v_mfma_i32_16x16x32_i8 v[34:37], a[38:39], a[54:55], v[34:37]// 000000002B1C: D3D70022 1C8A6D26
	ds_read_b128 a[68:71], v26 offset:64                       // 000000002B24: DBFE0040 4400001A
	v_mfma_i32_16x16x32_i8 v[38:41], a[40:41], a[48:49], v[38:41]// 000000002B2C: D3D70026 1C9A6128
	buffer_load_dwordx4 a[16:19], v28, s[8:11], 0 offen        // 000000002B34: E05C1000 8082101C
	v_mfma_i32_16x16x32_i8 v[38:41], a[42:43], a[50:51], v[38:41]// 000000002B3C: D3D70026 1C9A652A
	v_mfma_i32_16x16x32_i8 v[38:41], a[44:45], a[52:53], v[38:41]// 000000002B44: D3D70026 1C9A692C
	buffer_load_dwordx4 a[20:23], v29, s[8:11], 0 offen        // 000000002B4C: E05C1000 8082141D
	v_mfma_i32_16x16x32_i8 v[38:41], a[46:47], a[54:55], v[38:41]// 000000002B54: D3D70026 1C9A6D2E
	v_mfma_i32_16x16x32_i8 v[42:45], a[32:33], a[56:57], v[42:45]// 000000002B5C: D3D7002A 1CAA7120
	s_add_u32 m0, 0x200, s55                                   // 000000002B64: 807C37FF 00000200
	buffer_load_dword v24, s[4:7], 0 offen lds                 // 000000002B6C: E0511000 80010018
	v_mfma_i32_16x16x32_i8 v[42:45], a[34:35], a[58:59], v[42:45]// 000000002B74: D3D7002A 1CAA7522
	ds_read_b128 a[72:75], v26 offset:512                      // 000000002B7C: DBFE0200 4800001A
	v_mfma_i32_16x16x32_i8 v[42:45], a[36:37], a[60:61], v[42:45]// 000000002B84: D3D7002A 1CAA7924
	s_add_u32 m0, 0x300, s55                                   // 000000002B8C: 807C37FF 00000300
	buffer_load_dword v25, s[4:7], 0 offen lds                 // 000000002B94: E0511000 80010019
	v_mfma_i32_16x16x32_i8 v[42:45], a[38:39], a[62:63], v[42:45]// 000000002B9C: D3D7002A 1CAA7D26
	ds_read_b128 a[76:79], v26 offset:576                      // 000000002BA4: DBFE0240 4C00001A
	v_mfma_i32_16x16x32_i8 v[46:49], a[40:41], a[56:57], v[46:49]// 000000002BAC: D3D7002E 1CBA7128
	buffer_load_dwordx4 a[24:27], v30, s[8:11], 0 offen        // 000000002BB4: E05C1000 8082181E
	v_mfma_i32_16x16x32_i8 v[46:49], a[42:43], a[58:59], v[46:49]// 000000002BBC: D3D7002E 1CBA752A
	s_add_u32 s47, 0x200, s39                                  // 000000002BC4: 802F27FF 00000200
	s_cmp_lt_u32 s47, s40                                      // 000000002BCC: BF0A282F
	s_cselect_b32 s51, s51, 0                                  // 000000002BD0: 85338033
	s_add_u32 s47, 0x180, s39                                  // 000000002BD4: 802F27FF 00000180
	s_cmp_lt_u32 s47, s40                                      // 000000002BDC: BF0A282F
	s_cselect_b32 s52, s52, 0                                  // 000000002BE0: 85348034
	v_mfma_i32_16x16x32_i8 v[46:49], a[44:45], a[60:61], v[46:49]// 000000002BE4: D3D7002E 1CBA792C
	buffer_load_dwordx4 a[28:31], v31, s[8:11], 0 offen        // 000000002BEC: E05C1000 80821C1F
	v_mfma_i32_16x16x32_i8 v[46:49], a[46:47], a[62:63], v[46:49]// 000000002BF4: D3D7002E 1CBA7D2E
	s_add_u32 s4, s51, s4                                      // 000000002BFC: 80040433
	s_addc_u32 s5, 0, s5                                       // 000000002C00: 82050580
	s_sub_u32 s6, s6, s51                                      // 000000002C04: 80863306
	s_add_u32 s8, s52, s8                                      // 000000002C08: 80080834
	s_addc_u32 s9, 0, s9                                       // 000000002C0C: 82090980
	s_sub_u32 s10, s10, s52                                    // 000000002C10: 808A340A
	s_addk_i32 s39, 0x80                                       // 000000002C14: B7270080
	s_cmp_lt_i32 s39, s40                                      // 000000002C18: BF042827
	s_cbranch_scc0 label_03FF                                  // 000000002C1C: BF8400F7
	s_waitcnt vmcnt(8) lgkmcnt(0)                              // 000000002C20: BF8C0078
	s_barrier                                                  // 000000002C24: BF8A0000
	v_mfma_i32_16x16x32_i8 v[34:37], a[0:1], a[64:65], v[34:37]// 000000002C28: D3D70022 1C8A8100
	s_add_u32 m0, 0, s53                                       // 000000002C30: 807C3580
	buffer_load_dword v22, s[4:7], 0 offen lds                 // 000000002C34: E0511000 80010016
	v_mfma_i32_16x16x32_i8 v[34:37], a[2:3], a[66:67], v[34:37]// 000000002C3C: D3D70022 1C8A8502
	ds_read_b128 a[48:51], v26 offset:4224                     // 000000002C44: DBFE1080 3000001A
	v_mfma_i32_16x16x32_i8 v[34:37], a[4:5], a[68:69], v[34:37]// 000000002C4C: D3D70022 1C8A8904
	s_add_u32 m0, 0x100, s53                                   // 000000002C54: 807C35FF 00000100
	buffer_load_dword v23, s[4:7], 0 offen lds                 // 000000002C5C: E0511000 80010017
	v_mfma_i32_16x16x32_i8 v[34:37], a[6:7], a[70:71], v[34:37]// 000000002C64: D3D70022 1C8A8D06
	ds_read_b128 a[52:55], v26 offset:4288                     // 000000002C6C: DBFE10C0 3400001A
	v_mfma_i32_16x16x32_i8 v[38:41], a[8:9], a[64:65], v[38:41]// 000000002C74: D3D70026 1C9A8108
	buffer_load_dwordx4 a[32:35], v28, s[8:11], 0 offen        // 000000002C7C: E05C1000 8082201C
	v_mfma_i32_16x16x32_i8 v[38:41], a[10:11], a[66:67], v[38:41]// 000000002C84: D3D70026 1C9A850A
	v_mfma_i32_16x16x32_i8 v[38:41], a[12:13], a[68:69], v[38:41]// 000000002C8C: D3D70026 1C9A890C
	buffer_load_dwordx4 a[36:39], v29, s[8:11], 0 offen        // 000000002C94: E05C1000 8082241D
	v_mfma_i32_16x16x32_i8 v[38:41], a[14:15], a[70:71], v[38:41]// 000000002C9C: D3D70026 1C9A8D0E
	v_mfma_i32_16x16x32_i8 v[42:45], a[0:1], a[72:73], v[42:45]// 000000002CA4: D3D7002A 1CAA9100
	s_add_u32 m0, 0x200, s53                                   // 000000002CAC: 807C35FF 00000200
	buffer_load_dword v24, s[4:7], 0 offen lds                 // 000000002CB4: E0511000 80010018
	v_mfma_i32_16x16x32_i8 v[42:45], a[2:3], a[74:75], v[42:45]// 000000002CBC: D3D7002A 1CAA9502
	ds_read_b128 a[56:59], v26 offset:4736                     // 000000002CC4: DBFE1280 3800001A
	v_mfma_i32_16x16x32_i8 v[42:45], a[4:5], a[76:77], v[42:45]// 000000002CCC: D3D7002A 1CAA9904
	s_add_u32 m0, 0x300, s53                                   // 000000002CD4: 807C35FF 00000300
	buffer_load_dword v25, s[4:7], 0 offen lds                 // 000000002CDC: E0511000 80010019
	v_mfma_i32_16x16x32_i8 v[42:45], a[6:7], a[78:79], v[42:45]// 000000002CE4: D3D7002A 1CAA9D06
	ds_read_b128 a[60:63], v26 offset:4800                     // 000000002CEC: DBFE12C0 3C00001A
	v_mfma_i32_16x16x32_i8 v[46:49], a[8:9], a[72:73], v[46:49]// 000000002CF4: D3D7002E 1CBA9108
	buffer_load_dwordx4 a[40:43], v30, s[8:11], 0 offen        // 000000002CFC: E05C1000 8082281E
	v_mfma_i32_16x16x32_i8 v[46:49], a[10:11], a[74:75], v[46:49]// 000000002D04: D3D7002E 1CBA950A
	s_add_u32 s47, 0x200, s39                                  // 000000002D0C: 802F27FF 00000200
	s_cmp_lt_u32 s47, s40                                      // 000000002D14: BF0A282F
	s_cselect_b32 s51, s51, 0                                  // 000000002D18: 85338033
	s_add_u32 s47, 0x180, s39                                  // 000000002D1C: 802F27FF 00000180
	s_cmp_lt_u32 s47, s40                                      // 000000002D24: BF0A282F
	s_cselect_b32 s52, s52, 0                                  // 000000002D28: 85348034
	v_mfma_i32_16x16x32_i8 v[46:49], a[12:13], a[76:77], v[46:49]// 000000002D2C: D3D7002E 1CBA990C
	buffer_load_dwordx4 a[44:47], v31, s[8:11], 0 offen        // 000000002D34: E05C1000 80822C1F
	v_mfma_i32_16x16x32_i8 v[46:49], a[14:15], a[78:79], v[46:49]// 000000002D3C: D3D7002E 1CBA9D0E
	s_add_u32 s4, s51, s4                                      // 000000002D44: 80040433
	s_addc_u32 s5, 0, s5                                       // 000000002D48: 82050580
	s_sub_u32 s6, s6, s51                                      // 000000002D4C: 80863306
	s_add_u32 s8, s52, s8                                      // 000000002D50: 80080834
	s_addc_u32 s9, 0, s9                                       // 000000002D54: 82090980
	s_sub_u32 s10, s10, s52                                    // 000000002D58: 808A340A
	s_addk_i32 s39, 0x80                                       // 000000002D5C: B7270080
	s_cmp_lt_i32 s39, s40                                      // 000000002D60: BF042827
	s_cbranch_scc0 label_03FF                                  // 000000002D64: BF8400A5
	s_waitcnt vmcnt(8) lgkmcnt(0)                              // 000000002D68: BF8C0078
	s_barrier                                                  // 000000002D6C: BF8A0000
	v_mfma_i32_16x16x32_i8 v[34:37], a[16:17], a[48:49], v[34:37]// 000000002D70: D3D70022 1C8A6110
	s_add_u32 m0, 0, s54                                       // 000000002D78: 807C3680
	buffer_load_dword v22, s[4:7], 0 offen lds                 // 000000002D7C: E0511000 80010016
	v_mfma_i32_16x16x32_i8 v[34:37], a[18:19], a[50:51], v[34:37]// 000000002D84: D3D70022 1C8A6512
	ds_read_b128 a[64:67], v26 offset:8448                     // 000000002D8C: DBFE2100 4000001A
	v_mfma_i32_16x16x32_i8 v[34:37], a[20:21], a[52:53], v[34:37]// 000000002D94: D3D70022 1C8A6914
	s_add_u32 m0, 0x100, s54                                   // 000000002D9C: 807C36FF 00000100
	buffer_load_dword v23, s[4:7], 0 offen lds                 // 000000002DA4: E0511000 80010017
	v_mfma_i32_16x16x32_i8 v[34:37], a[22:23], a[54:55], v[34:37]// 000000002DAC: D3D70022 1C8A6D16
	ds_read_b128 a[68:71], v26 offset:8512                     // 000000002DB4: DBFE2140 4400001A
	v_mfma_i32_16x16x32_i8 v[38:41], a[24:25], a[48:49], v[38:41]// 000000002DBC: D3D70026 1C9A6118
	buffer_load_dwordx4 a[0:3], v28, s[8:11], 0 offen          // 000000002DC4: E05C1000 8082001C
	v_mfma_i32_16x16x32_i8 v[38:41], a[26:27], a[50:51], v[38:41]// 000000002DCC: D3D70026 1C9A651A
	v_mfma_i32_16x16x32_i8 v[38:41], a[28:29], a[52:53], v[38:41]// 000000002DD4: D3D70026 1C9A691C
	buffer_load_dwordx4 a[4:7], v29, s[8:11], 0 offen          // 000000002DDC: E05C1000 8082041D
	v_mfma_i32_16x16x32_i8 v[38:41], a[30:31], a[54:55], v[38:41]// 000000002DE4: D3D70026 1C9A6D1E
	v_mfma_i32_16x16x32_i8 v[42:45], a[16:17], a[56:57], v[42:45]// 000000002DEC: D3D7002A 1CAA7110
	s_add_u32 m0, 0x200, s54                                   // 000000002DF4: 807C36FF 00000200
	buffer_load_dword v24, s[4:7], 0 offen lds                 // 000000002DFC: E0511000 80010018
	v_mfma_i32_16x16x32_i8 v[42:45], a[18:19], a[58:59], v[42:45]// 000000002E04: D3D7002A 1CAA7512
	ds_read_b128 a[72:75], v26 offset:8960                     // 000000002E0C: DBFE2300 4800001A
	v_mfma_i32_16x16x32_i8 v[42:45], a[20:21], a[60:61], v[42:45]// 000000002E14: D3D7002A 1CAA7914
	s_add_u32 m0, 0x300, s54                                   // 000000002E1C: 807C36FF 00000300
	buffer_load_dword v25, s[4:7], 0 offen lds                 // 000000002E24: E0511000 80010019
	v_mfma_i32_16x16x32_i8 v[42:45], a[22:23], a[62:63], v[42:45]// 000000002E2C: D3D7002A 1CAA7D16
	ds_read_b128 a[76:79], v26 offset:9024                     // 000000002E34: DBFE2340 4C00001A
	v_mfma_i32_16x16x32_i8 v[46:49], a[24:25], a[56:57], v[46:49]// 000000002E3C: D3D7002E 1CBA7118
	buffer_load_dwordx4 a[8:11], v30, s[8:11], 0 offen         // 000000002E44: E05C1000 8082081E
	v_mfma_i32_16x16x32_i8 v[46:49], a[26:27], a[58:59], v[46:49]// 000000002E4C: D3D7002E 1CBA751A
	s_add_u32 s47, 0x200, s39                                  // 000000002E54: 802F27FF 00000200
	s_cmp_lt_u32 s47, s40                                      // 000000002E5C: BF0A282F
	s_cselect_b32 s51, s51, 0                                  // 000000002E60: 85338033
	s_add_u32 s47, 0x180, s39                                  // 000000002E64: 802F27FF 00000180
	s_cmp_lt_u32 s47, s40                                      // 000000002E6C: BF0A282F
	s_cselect_b32 s52, s52, 0                                  // 000000002E70: 85348034
	v_mfma_i32_16x16x32_i8 v[46:49], a[28:29], a[60:61], v[46:49]// 000000002E74: D3D7002E 1CBA791C
	buffer_load_dwordx4 a[12:15], v31, s[8:11], 0 offen        // 000000002E7C: E05C1000 80820C1F
	v_mfma_i32_16x16x32_i8 v[46:49], a[30:31], a[62:63], v[46:49]// 000000002E84: D3D7002E 1CBA7D1E
	s_add_u32 s4, s51, s4                                      // 000000002E8C: 80040433
	s_addc_u32 s5, 0, s5                                       // 000000002E90: 82050580
	s_sub_u32 s6, s6, s51                                      // 000000002E94: 80863306
	s_add_u32 s8, s52, s8                                      // 000000002E98: 80080834
	s_addc_u32 s9, 0, s9                                       // 000000002E9C: 82090980
	s_sub_u32 s10, s10, s52                                    // 000000002EA0: 808A340A
	s_addk_i32 s39, 0x80                                       // 000000002EA4: B7270080
	s_cmp_lt_i32 s39, s40                                      // 000000002EA8: BF042827
	s_cbranch_scc0 label_03FF                                  // 000000002EAC: BF840053
	s_waitcnt vmcnt(8) lgkmcnt(0)                              // 000000002EB0: BF8C0078
	s_barrier                                                  // 000000002EB4: BF8A0000
	v_mfma_i32_16x16x32_i8 v[34:37], a[32:33], a[64:65], v[34:37]// 000000002EB8: D3D70022 1C8A8120
	s_add_u32 m0, 0, s55                                       // 000000002EC0: 807C3780
	buffer_load_dword v22, s[4:7], 0 offen lds                 // 000000002EC4: E0511000 80010016
	v_mfma_i32_16x16x32_i8 v[34:37], a[34:35], a[66:67], v[34:37]// 000000002ECC: D3D70022 1C8A8522
	ds_read_b128 a[48:51], v26                                 // 000000002ED4: DBFE0000 3000001A
	v_mfma_i32_16x16x32_i8 v[34:37], a[36:37], a[68:69], v[34:37]// 000000002EDC: D3D70022 1C8A8924
	s_add_u32 m0, 0x100, s55                                   // 000000002EE4: 807C37FF 00000100
	buffer_load_dword v23, s[4:7], 0 offen lds                 // 000000002EEC: E0511000 80010017
	v_mfma_i32_16x16x32_i8 v[34:37], a[38:39], a[70:71], v[34:37]// 000000002EF4: D3D70022 1C8A8D26
	ds_read_b128 a[52:55], v26 offset:64                       // 000000002EFC: DBFE0040 3400001A
	v_mfma_i32_16x16x32_i8 v[38:41], a[40:41], a[64:65], v[38:41]// 000000002F04: D3D70026 1C9A8128
	buffer_load_dwordx4 a[16:19], v28, s[8:11], 0 offen        // 000000002F0C: E05C1000 8082101C
	v_mfma_i32_16x16x32_i8 v[38:41], a[42:43], a[66:67], v[38:41]// 000000002F14: D3D70026 1C9A852A
	v_mfma_i32_16x16x32_i8 v[38:41], a[44:45], a[68:69], v[38:41]// 000000002F1C: D3D70026 1C9A892C
	buffer_load_dwordx4 a[20:23], v29, s[8:11], 0 offen        // 000000002F24: E05C1000 8082141D
	v_mfma_i32_16x16x32_i8 v[38:41], a[46:47], a[70:71], v[38:41]// 000000002F2C: D3D70026 1C9A8D2E
	v_mfma_i32_16x16x32_i8 v[42:45], a[32:33], a[72:73], v[42:45]// 000000002F34: D3D7002A 1CAA9120
	s_add_u32 m0, 0x200, s55                                   // 000000002F3C: 807C37FF 00000200
	buffer_load_dword v24, s[4:7], 0 offen lds                 // 000000002F44: E0511000 80010018
	v_mfma_i32_16x16x32_i8 v[42:45], a[34:35], a[74:75], v[42:45]// 000000002F4C: D3D7002A 1CAA9522
	ds_read_b128 a[56:59], v26 offset:512                      // 000000002F54: DBFE0200 3800001A
	v_mfma_i32_16x16x32_i8 v[42:45], a[36:37], a[76:77], v[42:45]// 000000002F5C: D3D7002A 1CAA9924
	s_add_u32 m0, 0x300, s55                                   // 000000002F64: 807C37FF 00000300
	buffer_load_dword v25, s[4:7], 0 offen lds                 // 000000002F6C: E0511000 80010019
	v_mfma_i32_16x16x32_i8 v[42:45], a[38:39], a[78:79], v[42:45]// 000000002F74: D3D7002A 1CAA9D26
	ds_read_b128 a[60:63], v26 offset:576                      // 000000002F7C: DBFE0240 3C00001A
	v_mfma_i32_16x16x32_i8 v[46:49], a[40:41], a[72:73], v[46:49]// 000000002F84: D3D7002E 1CBA9128
	buffer_load_dwordx4 a[24:27], v30, s[8:11], 0 offen        // 000000002F8C: E05C1000 8082181E
	v_mfma_i32_16x16x32_i8 v[46:49], a[42:43], a[74:75], v[46:49]// 000000002F94: D3D7002E 1CBA952A
	s_add_u32 s47, 0x200, s39                                  // 000000002F9C: 802F27FF 00000200
	s_cmp_lt_u32 s47, s40                                      // 000000002FA4: BF0A282F
	s_cselect_b32 s51, s51, 0                                  // 000000002FA8: 85338033
	s_add_u32 s47, 0x180, s39                                  // 000000002FAC: 802F27FF 00000180
	s_cmp_lt_u32 s47, s40                                      // 000000002FB4: BF0A282F
	s_cselect_b32 s52, s52, 0                                  // 000000002FB8: 85348034
	v_mfma_i32_16x16x32_i8 v[46:49], a[44:45], a[76:77], v[46:49]// 000000002FBC: D3D7002E 1CBA992C
	buffer_load_dwordx4 a[28:31], v31, s[8:11], 0 offen        // 000000002FC4: E05C1000 80821C1F
	v_mfma_i32_16x16x32_i8 v[46:49], a[46:47], a[78:79], v[46:49]// 000000002FCC: D3D7002E 1CBA9D2E
	s_add_u32 s4, s51, s4                                      // 000000002FD4: 80040433
	s_addc_u32 s5, 0, s5                                       // 000000002FD8: 82050580
	s_sub_u32 s6, s6, s51                                      // 000000002FDC: 80863306
	s_add_u32 s8, s52, s8                                      // 000000002FE0: 80080834
	s_addc_u32 s9, 0, s9                                       // 000000002FE4: 82090980
	s_sub_u32 s10, s10, s52                                    // 000000002FE8: 808A340A
	s_addk_i32 s39, 0x80                                       // 000000002FEC: B7270080
	s_cmp_lt_i32 s39, s40                                      // 000000002FF0: BF042827
	s_cbranch_scc0 label_03FF                                  // 000000002FF4: BF840001
	s_branch label_0212                                        // 000000002FF8: BF82FE13

0000000000002ffc <label_03FF>:
	s_cmp_eq_u32 s38, 1                                        // 000000002FFC: BF068126
	s_cbranch_scc1 label_04C3                                  // 000000003000: BF8500C2
	v_cvt_f32_i32_e32 v34, v34                                 // 000000003004: 7E440B22
	v_cvt_f32_i32_e32 v35, v35                                 // 000000003008: 7E460B23
	v_pk_mul_f32 v[34:35], v[34:35], v[62:63]                  // 00000000300C: D3B14022 18027D22
	v_fma_f32 v34, v34, v58, v76                               // 000000003014: D1CB0022 05327522
	v_fma_f32 v35, v35, v58, v77                               // 00000000301C: D1CB0023 05367523
	v_perm_b32 v50, v35, v34, s45                              // 000000003024: D1ED0032 00B64523
	v_cvt_f32_i32_e32 v36, v36                                 // 00000000302C: 7E480B24
	v_cvt_f32_i32_e32 v37, v37                                 // 000000003030: 7E4A0B25
	v_pk_mul_f32 v[36:37], v[36:37], v[64:65]                  // 000000003034: D3B14024 18028124
	v_fma_f32 v36, v36, v58, v78                               // 00000000303C: D1CB0024 053A7524
	v_fma_f32 v37, v37, v58, v79                               // 000000003044: D1CB0025 053E7525
	v_perm_b32 v51, v37, v36, s45                              // 00000000304C: D1ED0033 00B64925
	v_cvt_f32_i32_e32 v38, v38                                 // 000000003054: 7E4C0B26
	v_cvt_f32_i32_e32 v39, v39                                 // 000000003058: 7E4E0B27
	v_pk_mul_f32 v[38:39], v[38:39], v[66:67]                  // 00000000305C: D3B14026 18028526
	v_fma_f32 v38, v38, v58, v80                               // 000000003064: D1CB0026 05427526
	v_fma_f32 v39, v39, v58, v81                               // 00000000306C: D1CB0027 05467527
	v_perm_b32 v52, v39, v38, s45                              // 000000003074: D1ED0034 00B64D27
	v_cvt_f32_i32_e32 v40, v40                                 // 00000000307C: 7E500B28
	v_cvt_f32_i32_e32 v41, v41                                 // 000000003080: 7E520B29
	v_pk_mul_f32 v[40:41], v[40:41], v[68:69]                  // 000000003084: D3B14028 18028928
	v_fma_f32 v40, v40, v58, v82                               // 00000000308C: D1CB0028 054A7528
	v_fma_f32 v41, v41, v58, v83                               // 000000003094: D1CB0029 054E7529
	v_perm_b32 v53, v41, v40, s45                              // 00000000309C: D1ED0035 00B65129
	v_cvt_f32_i32_e32 v42, v42                                 // 0000000030A4: 7E540B2A
	v_cvt_f32_i32_e32 v43, v43                                 // 0000000030A8: 7E560B2B
	v_pk_mul_f32 v[42:43], v[42:43], v[62:63]                  // 0000000030AC: D3B1402A 18027D2A
	v_fma_f32 v42, v42, v59, v76                               // 0000000030B4: D1CB002A 0532772A
	v_fma_f32 v43, v43, v59, v77                               // 0000000030BC: D1CB002B 0536772B
	v_perm_b32 v54, v43, v42, s45                              // 0000000030C4: D1ED0036 00B6552B
	v_cvt_f32_i32_e32 v44, v44                                 // 0000000030CC: 7E580B2C
	v_cvt_f32_i32_e32 v45, v45                                 // 0000000030D0: 7E5A0B2D
	v_pk_mul_f32 v[44:45], v[44:45], v[64:65]                  // 0000000030D4: D3B1402C 1802812C
	v_fma_f32 v44, v44, v59, v78                               // 0000000030DC: D1CB002C 053A772C
	v_fma_f32 v45, v45, v59, v79                               // 0000000030E4: D1CB002D 053E772D
	v_perm_b32 v55, v45, v44, s45                              // 0000000030EC: D1ED0037 00B6592D
	v_cvt_f32_i32_e32 v46, v46                                 // 0000000030F4: 7E5C0B2E
	v_cvt_f32_i32_e32 v47, v47                                 // 0000000030F8: 7E5E0B2F
	v_pk_mul_f32 v[46:47], v[46:47], v[66:67]                  // 0000000030FC: D3B1402E 1802852E
	v_fma_f32 v46, v46, v59, v80                               // 000000003104: D1CB002E 0542772E
	v_fma_f32 v47, v47, v59, v81                               // 00000000310C: D1CB002F 0546772F
	v_perm_b32 v56, v47, v46, s45                              // 000000003114: D1ED0038 00B65D2F
	v_cvt_f32_i32_e32 v48, v48                                 // 00000000311C: 7E600B30
	v_cvt_f32_i32_e32 v49, v49                                 // 000000003120: 7E620B31
	v_pk_mul_f32 v[48:49], v[48:49], v[68:69]                  // 000000003124: D3B14030 18028930
	v_fma_f32 v48, v48, v59, v82                               // 00000000312C: D1CB0030 054A7730
	v_fma_f32 v49, v49, v59, v83                               // 000000003134: D1CB0031 054E7731
	v_perm_b32 v57, v49, v48, s45                              // 00000000313C: D1ED0039 00B66131
	v_lshrrev_b32_e32 v4, 4, v0                                // 000000003144: 20080084
	v_mul_u32_u24_e32 v26, 34, v4                              // 000000003148: 103408A2
	v_and_b32_e32 v4, 15, v0                                   // 00000000314C: 2608008F
	v_mul_lo_u32 v5, 2, v4                                     // 000000003150: D2850005 00020882
	v_add_u32_e32 v26, v5, v26                                 // 000000003158: 68343505
	s_mul_i32 s47, s44, 0x110                                  // 00000000315C: 922FFF2C 00000110
	v_add_u32_e32 v26, s47, v26                                // 000000003164: 6834342F
	v_lshlrev_b32_e32 v26, 2, v26                              // 000000003168: 24343482
	v_lshrrev_b32_e32 v4, 1, v0                                // 00000000316C: 20080081
	v_mul_u32_u24_e32 v32, 34, v4                              // 000000003170: 104008A2
	v_and_b32_e32 v5, 1, v0                                    // 000000003174: 260A0081
	v_add_u32_e32 v32, v5, v32                                 // 000000003178: 68404105
	s_mul_i32 s47, s44, 2                                      // 00000000317C: 922F822C
	v_add_u32_e32 v32, s47, v32                                // 000000003180: 6840402F
	v_lshlrev_b32_e32 v32, 2, v32                              // 000000003184: 24404082
	s_waitcnt vmcnt(0) expcnt(0) lgkmcnt(0)                    // 000000003188: BF8C0000
	s_barrier                                                  // 00000000318C: BF8A0000
	ds_write_b64 v26, v[50:51]                                 // 000000003190: D89A0000 0000321A
	ds_write_b64 v26, v[52:53] offset:544                      // 000000003198: D89A0220 0000341A
	ds_write_b64 v26, v[54:55] offset:4352                     // 0000000031A0: D89A1100 0000361A
	ds_write_b64 v26, v[56:57] offset:4896                     // 0000000031A8: D89A1320 0000381A
	s_waitcnt lgkmcnt(0)                                       // 0000000031B0: BF8CC07F
	s_barrier                                                  // 0000000031B4: BF8A0000
	ds_read_b32 v50, v32                                       // 0000000031B8: D86C0000 32000020
	ds_read_b32 v51, v32 offset:32                             // 0000000031C0: D86C0020 33000020
	ds_read_b32 v52, v32 offset:64                             // 0000000031C8: D86C0040 34000020
	ds_read_b32 v53, v32 offset:96                             // 0000000031D0: D86C0060 35000020
	ds_read_b32 v54, v32 offset:4352                           // 0000000031D8: D86C1100 36000020
	ds_read_b32 v55, v32 offset:4384                           // 0000000031E0: D86C1120 37000020
	ds_read_b32 v56, v32 offset:4416                           // 0000000031E8: D86C1140 38000020
	ds_read_b32 v57, v32 offset:4448                           // 0000000031F0: D86C1160 39000020
	s_waitcnt lgkmcnt(0)                                       // 0000000031F8: BF8CC07F
	s_barrier                                                  // 0000000031FC: BF8A0000
	s_mul_i32 s47, s37, 4                                      // 000000003200: 922F8425
	s_mul_i32 s48, s37, 8                                      // 000000003204: 92308825
	s_mul_i32 s49, s37, 16                                     // 000000003208: 92319025
	v_mov_b32_e32 v4, v18                                      // 00000000320C: 7E080312
	v_mov_b32_e32 v5, 0                                        // 000000003210: 7E0A0280
	v_mov_b32_e32 v7, 0                                        // 000000003214: 7E0E0280
	v_mov_b32_e32 v9, 0                                        // 000000003218: 7E120280
	v_mov_b32_e32 v11, 0                                       // 00000000321C: 7E160280
	v_mov_b32_e32 v6, v4                                       // 000000003220: 7E0C0304
	v_add_u32_e64 v10, v4, s48                                 // 000000003224: D134000A 00006104
	s_cmp_ge_u32 s77, s32                                      // 00000000322C: BF09204D
	s_cbranch_scc1 label_051B                                  // 000000003230: BF85008E
	global_atomic_pk_add_bf16 v6, v50, s[80:81]                // 000000003234: DD488000 00503206
	v_add_u32_e64 v8, v6, s47                                  // 00000000323C: D1340008 00005F06
	s_add_i32 s77, s77, 4                                      // 000000003244: 814D844D
	s_cmp_ge_u32 s77, s32                                      // 000000003248: BF09204D
	s_cbranch_scc1 label_051B                                  // 00000000324C: BF850087
	global_atomic_pk_add_bf16 v8, v51, s[80:81]                // 000000003250: DD488000 00503308
	s_add_i32 s77, s77, 4                                      // 000000003258: 814D844D
	s_cmp_ge_u32 s77, s32                                      // 00000000325C: BF09204D
	s_cbranch_scc1 label_051B                                  // 000000003260: BF850082
	global_atomic_pk_add_bf16 v10, v52, s[80:81]               // 000000003264: DD488000 0050340A
	v_add_u32_e64 v12, v10, s47                                // 00000000326C: D134000C 00005F0A
	s_add_i32 s77, s77, 4                                      // 000000003274: 814D844D
	s_cmp_ge_u32 s77, s32                                      // 000000003278: BF09204D
	s_cbranch_scc1 label_051B                                  // 00000000327C: BF85007B
	global_atomic_pk_add_bf16 v12, v53, s[80:81]               // 000000003280: DD488000 0050350C
	s_add_i32 s77, s77, 4                                      // 000000003288: 814D844D
	v_add_u32_e64 v4, v4, s49                                  // 00000000328C: D1340004 00006304
	v_mov_b32_e32 v6, v4                                       // 000000003294: 7E0C0304
	v_add_u32_e64 v10, v4, s48                                 // 000000003298: D134000A 00006104
	s_cmp_ge_u32 s77, s32                                      // 0000000032A0: BF09204D
	s_cbranch_scc1 label_051B                                  // 0000000032A4: BF850071
	global_atomic_pk_add_bf16 v6, v54, s[80:81]                // 0000000032A8: DD488000 00503606
	v_add_u32_e64 v8, v6, s47                                  // 0000000032B0: D1340008 00005F06
	s_add_i32 s77, s77, 4                                      // 0000000032B8: 814D844D
	s_cmp_ge_u32 s77, s32                                      // 0000000032BC: BF09204D
	s_cbranch_scc1 label_051B                                  // 0000000032C0: BF85006A
	global_atomic_pk_add_bf16 v8, v55, s[80:81]                // 0000000032C4: DD488000 00503708
	s_add_i32 s77, s77, 4                                      // 0000000032CC: 814D844D
	s_cmp_ge_u32 s77, s32                                      // 0000000032D0: BF09204D
	s_cbranch_scc1 label_051B                                  // 0000000032D4: BF850065
	global_atomic_pk_add_bf16 v10, v56, s[80:81]               // 0000000032D8: DD488000 0050380A
	v_add_u32_e64 v12, v10, s47                                // 0000000032E0: D134000C 00005F0A
	s_add_i32 s77, s77, 4                                      // 0000000032E8: 814D844D
	s_cmp_ge_u32 s77, s32                                      // 0000000032EC: BF09204D
	s_cbranch_scc1 label_051B                                  // 0000000032F0: BF85005E
	global_atomic_pk_add_bf16 v12, v57, s[80:81]               // 0000000032F4: DD488000 0050390C
	s_add_i32 s77, s77, 4                                      // 0000000032FC: 814D844D
	v_add_u32_e64 v4, v4, s49                                  // 000000003300: D1340004 00006304
	s_branch label_051B                                        // 000000003308: BF820058

000000000000330c <label_04C3>:
	v_cvt_f32_i32_e32 v34, v34                                 // 00000000330C: 7E440B22
	v_cvt_f32_i32_e32 v35, v35                                 // 000000003310: 7E460B23
	v_pk_mul_f32 v[34:35], v[34:35], v[62:63]                  // 000000003314: D3B14022 18027D22
	v_fma_f32 v34, v34, v58, v76                               // 00000000331C: D1CB0022 05327522
	v_fma_f32 v35, v35, v58, v77                               // 000000003324: D1CB0023 05367523
	v_perm_b32 v50, v35, v34, s45                              // 00000000332C: D1ED0032 00B64523
	v_cvt_f32_i32_e32 v36, v36                                 // 000000003334: 7E480B24
	v_cvt_f32_i32_e32 v37, v37                                 // 000000003338: 7E4A0B25
	v_pk_mul_f32 v[36:37], v[36:37], v[64:65]                  // 00000000333C: D3B14024 18028124
	v_fma_f32 v36, v36, v58, v78                               // 000000003344: D1CB0024 053A7524
	v_fma_f32 v37, v37, v58, v79                               // 00000000334C: D1CB0025 053E7525
	v_perm_b32 v51, v37, v36, s45                              // 000000003354: D1ED0033 00B64925
	buffer_store_dwordx2 v[50:51], v16, s[16:19], 0 offen      // 00000000335C: E0741000 80043210
	v_cvt_f32_i32_e32 v38, v38                                 // 000000003364: 7E4C0B26
	v_cvt_f32_i32_e32 v39, v39                                 // 000000003368: 7E4E0B27
	v_pk_mul_f32 v[38:39], v[38:39], v[66:67]                  // 00000000336C: D3B14026 18028526
	v_fma_f32 v38, v38, v58, v80                               // 000000003374: D1CB0026 05427526
	v_fma_f32 v39, v39, v58, v81                               // 00000000337C: D1CB0027 05467527
	v_perm_b32 v52, v39, v38, s45                              // 000000003384: D1ED0034 00B64D27
	v_cvt_f32_i32_e32 v40, v40                                 // 00000000338C: 7E500B28
	v_cvt_f32_i32_e32 v41, v41                                 // 000000003390: 7E520B29
	v_pk_mul_f32 v[40:41], v[40:41], v[68:69]                  // 000000003394: D3B14028 18028928
	v_fma_f32 v40, v40, v58, v82                               // 00000000339C: D1CB0028 054A7528
	v_fma_f32 v41, v41, v58, v83                               // 0000000033A4: D1CB0029 054E7529
	v_perm_b32 v53, v41, v40, s45                              // 0000000033AC: D1ED0035 00B65129
	buffer_store_dwordx2 v[52:53], v16, s[16:19], 0 offen offset:32// 0000000033B4: E0741020 80043410
	v_cvt_f32_i32_e32 v42, v42                                 // 0000000033BC: 7E540B2A
	v_cvt_f32_i32_e32 v43, v43                                 // 0000000033C0: 7E560B2B
	v_pk_mul_f32 v[42:43], v[42:43], v[62:63]                  // 0000000033C4: D3B1402A 18027D2A
	v_fma_f32 v42, v42, v59, v76                               // 0000000033CC: D1CB002A 0532772A
	v_fma_f32 v43, v43, v59, v77                               // 0000000033D4: D1CB002B 0536772B
	v_perm_b32 v54, v43, v42, s45                              // 0000000033DC: D1ED0036 00B6552B
	v_cvt_f32_i32_e32 v44, v44                                 // 0000000033E4: 7E580B2C
	v_cvt_f32_i32_e32 v45, v45                                 // 0000000033E8: 7E5A0B2D
	v_pk_mul_f32 v[44:45], v[44:45], v[64:65]                  // 0000000033EC: D3B1402C 1802812C
	v_fma_f32 v44, v44, v59, v78                               // 0000000033F4: D1CB002C 053A772C
	v_fma_f32 v45, v45, v59, v79                               // 0000000033FC: D1CB002D 053E772D
	v_perm_b32 v55, v45, v44, s45                              // 000000003404: D1ED0037 00B6592D
	buffer_store_dwordx2 v[54:55], v17, s[16:19], 0 offen      // 00000000340C: E0741000 80043611
	v_cvt_f32_i32_e32 v46, v46                                 // 000000003414: 7E5C0B2E
	v_cvt_f32_i32_e32 v47, v47                                 // 000000003418: 7E5E0B2F
	v_pk_mul_f32 v[46:47], v[46:47], v[66:67]                  // 00000000341C: D3B1402E 1802852E
	v_fma_f32 v46, v46, v59, v80                               // 000000003424: D1CB002E 0542772E
	v_fma_f32 v47, v47, v59, v81                               // 00000000342C: D1CB002F 0546772F
	v_perm_b32 v56, v47, v46, s45                              // 000000003434: D1ED0038 00B65D2F
	v_cvt_f32_i32_e32 v48, v48                                 // 00000000343C: 7E600B30
	v_cvt_f32_i32_e32 v49, v49                                 // 000000003440: 7E620B31
	v_pk_mul_f32 v[48:49], v[48:49], v[68:69]                  // 000000003444: D3B14030 18028930
	v_fma_f32 v48, v48, v59, v82                               // 00000000344C: D1CB0030 054A7730
	v_fma_f32 v49, v49, v59, v83                               // 000000003454: D1CB0031 054E7731
	v_perm_b32 v57, v49, v48, s45                              // 00000000345C: D1ED0039 00B66131
	buffer_store_dwordx2 v[56:57], v17, s[16:19], 0 offen offset:32// 000000003464: E0741020 80043811

000000000000346c <label_051B>:
	s_waitcnt vmcnt(0) expcnt(0) lgkmcnt(0)                    // 00000000346C: BF8C0000
	s_endpgm                                                   // 000000003470: BF810000
